;; amdgpu-corpus repo=zjin-lcf/HeCBench kind=compiled arch=gfx1100 opt=O3
	.text
	.amdgcn_target "amdgcn-amd-amdhsa--gfx1100"
	.amdhsa_code_object_version 6
	.protected	_Z11clock_blockPll      ; -- Begin function _Z11clock_blockPll
	.globl	_Z11clock_blockPll
	.p2align	8
	.type	_Z11clock_blockPll,@function
_Z11clock_blockPll:                     ; @_Z11clock_blockPll
; %bb.0:
	s_load_b128 s[0:3], s[0:1], 0x0
	s_waitcnt lgkmcnt(0)
	v_cmp_lt_i64_e64 s4, s[2:3], 1
	s_delay_alu instid0(VALU_DEP_1)
	s_and_b32 vcc_lo, exec_lo, s4
	s_cbranch_vccnz .LBB0_3
; %bb.1:
	s_mov_b64 s[4:5], 0
	s_mov_b64 s[6:7], -1
	s_mov_b64 s[8:9], 0
.LBB0_2:                                ; =>This Inner Loop Header: Depth=1
	s_add_u32 s10, 0, 0x55500000
	s_addc_u32 s11, 0, 0x155
	s_mul_hi_u32 s13, s10, -3
	s_add_i32 s11, s11, 0x55555400
	s_sub_i32 s13, s13, s10
	s_mul_i32 s16, s11, -3
	s_mul_i32 s12, s10, -3
	s_add_i32 s13, s13, s16
	s_mul_hi_u32 s14, s10, s12
	s_mul_i32 s17, s10, s13
	s_mul_hi_u32 s16, s10, s13
	s_mul_hi_u32 s15, s11, s12
	s_mul_i32 s12, s11, s12
	s_add_u32 s14, s14, s17
	s_addc_u32 s16, 0, s16
	s_mul_hi_u32 s18, s11, s13
	s_add_u32 s12, s14, s12
	s_mul_i32 s13, s11, s13
	s_addc_u32 s12, s16, s15
	s_addc_u32 s14, s18, 0
	s_add_u32 s12, s12, s13
	s_addc_u32 s13, 0, s14
	v_add_co_u32 v0, s10, s10, s12
	s_delay_alu instid0(VALU_DEP_1) | instskip(SKIP_1) | instid1(VALU_DEP_1)
	s_cmp_lg_u32 s10, 0
	s_addc_u32 s10, s11, s13
	v_readfirstlane_b32 s11, v0
	s_mul_i32 s13, s4, s10
	s_mul_hi_u32 s12, s4, s10
	s_mul_hi_u32 s14, s5, s10
	s_mul_i32 s15, s5, s10
	s_mul_hi_u32 s16, s4, s11
	s_mul_i32 s18, s5, s11
	s_add_u32 s13, s16, s13
	s_mul_hi_u32 s17, s5, s11
	s_addc_u32 s12, 0, s12
	s_add_u32 s13, s13, s18
	s_addc_u32 s12, s12, s17
	s_addc_u32 s13, s14, 0
	s_add_u32 s12, s12, s15
	s_addc_u32 s13, 0, s13
	s_mul_i32 s16, s12, 3
	s_add_u32 s14, s12, 1
	v_sub_co_u32 v0, s16, s4, s16
	s_mul_hi_u32 s15, s12, 3
	s_addc_u32 s17, s13, 0
	s_mul_i32 s18, s13, 3
	s_add_u32 s19, s12, 2
	s_addc_u32 s20, s13, 0
	s_add_i32 s15, s15, s18
	s_cmp_lg_u32 s16, 0
	v_sub_co_u32 v1, s16, v0, 3
	s_subb_u32 s15, s5, s15
	s_cmp_lg_u32 s16, 0
	v_readfirstlane_b32 s18, v0
	s_delay_alu instid0(VALU_DEP_2) | instskip(SKIP_1) | instid1(VALU_DEP_1)
	v_readfirstlane_b32 s21, v1
	s_subb_u32 s16, s15, 0
	s_cmp_gt_u32 s21, 2
	s_cselect_b32 s21, -1, 0
	s_cmp_eq_u32 s16, 0
	s_cselect_b32 s16, s21, -1
	s_delay_alu instid0(SALU_CYCLE_1)
	s_cmp_lg_u32 s16, 0
	s_cselect_b32 s14, s19, s14
	s_cselect_b32 s16, s20, s17
	s_cmp_gt_u32 s18, 2
	s_cselect_b32 s17, -1, 0
	s_cmp_eq_u32 s15, 0
	s_cselect_b32 s15, s17, -1
	s_delay_alu instid0(SALU_CYCLE_1)
	s_cmp_lg_u32 s15, 0
	s_cselect_b32 s12, s14, s12
	s_cselect_b32 s13, s16, s13
	s_mul_hi_u32 s14, s12, -3
	s_mul_i32 s13, s13, -3
	s_mul_i32 s15, s12, -3
	s_sub_i32 s12, s14, s12
	s_delay_alu instid0(SALU_CYCLE_1)
	s_add_i32 s13, s12, s13
	s_add_u32 s12, s8, s4
	s_addc_u32 s14, s9, s5
	s_add_u32 s12, s12, s15
	s_addc_u32 s13, s14, s13
	;; [unrolled: 2-line block ×4, first 2 shown]
	s_mul_i32 s16, s6, s10
	s_mul_hi_u32 s17, s6, s11
	s_mul_hi_u32 s15, s6, s10
	;; [unrolled: 1-line block ×3, first 2 shown]
	s_mul_i32 s11, s7, s11
	s_add_u32 s16, s17, s16
	s_addc_u32 s15, 0, s15
	s_mul_hi_u32 s18, s7, s10
	s_add_u32 s11, s16, s11
	s_mul_i32 s10, s7, s10
	s_addc_u32 s11, s15, s19
	s_addc_u32 s15, s18, 0
	s_add_u32 s10, s11, s10
	s_addc_u32 s11, 0, s15
	s_mul_i32 s17, s10, 3
	s_add_u32 s15, s10, 1
	v_sub_co_u32 v0, s17, s6, s17
	s_mul_hi_u32 s16, s10, 3
	s_addc_u32 s18, s11, 0
	s_mul_i32 s19, s11, 3
	s_add_u32 s20, s10, 2
	s_addc_u32 s21, s11, 0
	s_add_i32 s16, s16, s19
	s_cmp_lg_u32 s17, 0
	v_sub_co_u32 v1, s17, v0, 3
	s_subb_u32 s16, s7, s16
	s_cmp_lg_u32 s17, 0
	v_readfirstlane_b32 s19, v0
	s_delay_alu instid0(VALU_DEP_2) | instskip(SKIP_2) | instid1(VALU_DEP_2)
	v_readfirstlane_b32 s22, v1
	s_subb_u32 s17, s16, 0
	v_cmp_ge_u64_e64 s14, s[4:5], s[2:3]
	s_cmp_gt_u32 s22, 2
	s_cselect_b32 s22, -1, 0
	s_cmp_eq_u32 s17, 0
	s_cselect_b32 s17, s22, -1
	s_delay_alu instid0(SALU_CYCLE_1)
	s_cmp_lg_u32 s17, 0
	s_cselect_b32 s17, s21, s18
	s_cselect_b32 s15, s20, s15
	s_cmp_gt_u32 s19, 2
	s_cselect_b32 s18, -1, 0
	s_cmp_eq_u32 s16, 0
	s_cselect_b32 s16, s18, -1
	s_delay_alu instid0(SALU_CYCLE_1)
	s_cmp_lg_u32 s16, 0
	s_cselect_b32 s11, s17, s11
	s_cselect_b32 s10, s15, s10
	s_mul_i32 s11, s11, 3
	s_mul_hi_u32 s15, s10, 3
	s_mul_i32 s10, s10, 3
	s_add_i32 s11, s15, s11
	s_delay_alu instid0(SALU_CYCLE_1) | instskip(NEXT) | instid1(SALU_CYCLE_1)
	s_not_b64 s[10:11], s[10:11]
	s_add_u32 s8, s10, s8
	s_addc_u32 s9, s11, s9
	s_add_u32 s10, s8, s4
	s_addc_u32 s11, s9, s5
	s_and_b32 vcc_lo, exec_lo, s14
	s_mov_b64 s[8:9], s[12:13]
	s_cbranch_vccz .LBB0_2
	s_branch .LBB0_4
.LBB0_3:
	s_mov_b64 s[10:11], 0
.LBB0_4:
	s_delay_alu instid0(SALU_CYCLE_1)
	v_mov_b32_e32 v0, s10
	v_dual_mov_b32 v2, 0 :: v_dual_mov_b32 v1, s11
	global_store_b64 v2, v[0:1], s[0:1]
	s_nop 0
	s_sendmsg sendmsg(MSG_DEALLOC_VGPRS)
	s_endpgm
	.section	.rodata,"a",@progbits
	.p2align	6, 0x0
	.amdhsa_kernel _Z11clock_blockPll
		.amdhsa_group_segment_fixed_size 0
		.amdhsa_private_segment_fixed_size 0
		.amdhsa_kernarg_size 16
		.amdhsa_user_sgpr_count 15
		.amdhsa_user_sgpr_dispatch_ptr 0
		.amdhsa_user_sgpr_queue_ptr 0
		.amdhsa_user_sgpr_kernarg_segment_ptr 1
		.amdhsa_user_sgpr_dispatch_id 0
		.amdhsa_user_sgpr_private_segment_size 0
		.amdhsa_wavefront_size32 1
		.amdhsa_uses_dynamic_stack 0
		.amdhsa_enable_private_segment 0
		.amdhsa_system_sgpr_workgroup_id_x 1
		.amdhsa_system_sgpr_workgroup_id_y 0
		.amdhsa_system_sgpr_workgroup_id_z 0
		.amdhsa_system_sgpr_workgroup_info 0
		.amdhsa_system_vgpr_workitem_id 0
		.amdhsa_next_free_vgpr 3
		.amdhsa_next_free_sgpr 23
		.amdhsa_reserve_vcc 1
		.amdhsa_float_round_mode_32 0
		.amdhsa_float_round_mode_16_64 0
		.amdhsa_float_denorm_mode_32 3
		.amdhsa_float_denorm_mode_16_64 3
		.amdhsa_dx10_clamp 1
		.amdhsa_ieee_mode 1
		.amdhsa_fp16_overflow 0
		.amdhsa_workgroup_processor_mode 1
		.amdhsa_memory_ordered 1
		.amdhsa_forward_progress 0
		.amdhsa_shared_vgpr_count 0
		.amdhsa_exception_fp_ieee_invalid_op 0
		.amdhsa_exception_fp_denorm_src 0
		.amdhsa_exception_fp_ieee_div_zero 0
		.amdhsa_exception_fp_ieee_overflow 0
		.amdhsa_exception_fp_ieee_underflow 0
		.amdhsa_exception_fp_ieee_inexact 0
		.amdhsa_exception_int_div_zero 0
	.end_amdhsa_kernel
	.text
.Lfunc_end0:
	.size	_Z11clock_blockPll, .Lfunc_end0-_Z11clock_blockPll
                                        ; -- End function
	.section	.AMDGPU.csdata,"",@progbits
; Kernel info:
; codeLenInByte = 720
; NumSgprs: 25
; NumVgprs: 3
; ScratchSize: 0
; MemoryBound: 0
; FloatMode: 240
; IeeeMode: 1
; LDSByteSize: 0 bytes/workgroup (compile time only)
; SGPRBlocks: 3
; VGPRBlocks: 0
; NumSGPRsForWavesPerEU: 25
; NumVGPRsForWavesPerEU: 3
; Occupancy: 16
; WaveLimiterHint : 0
; COMPUTE_PGM_RSRC2:SCRATCH_EN: 0
; COMPUTE_PGM_RSRC2:USER_SGPR: 15
; COMPUTE_PGM_RSRC2:TRAP_HANDLER: 0
; COMPUTE_PGM_RSRC2:TGID_X_EN: 1
; COMPUTE_PGM_RSRC2:TGID_Y_EN: 0
; COMPUTE_PGM_RSRC2:TGID_Z_EN: 0
; COMPUTE_PGM_RSRC2:TIDIG_COMP_CNT: 0
	.text
	.protected	_Z3sumPli               ; -- Begin function _Z3sumPli
	.globl	_Z3sumPli
	.p2align	8
	.type	_Z3sumPli,@function
_Z3sumPli:                              ; @_Z3sumPli
; %bb.0:
	s_clause 0x1
	s_load_b32 s4, s[0:1], 0x8
	s_load_b64 s[2:3], s[0:1], 0x0
	v_mov_b32_e32 v1, 0
	v_mov_b32_e32 v2, 0
	s_mov_b32 s5, exec_lo
	s_waitcnt lgkmcnt(0)
	v_cmpx_gt_i32_e64 s4, v0
	s_cbranch_execz .LBB1_4
; %bb.1:
	s_load_b32 s0, s[0:1], 0x1c
	v_mov_b32_e32 v1, 0
	v_dual_mov_b32 v2, 0 :: v_dual_mov_b32 v3, v0
	s_mov_b32 s1, 0
	s_waitcnt lgkmcnt(0)
	s_and_b32 s6, s0, 0xffff
	.p2align	6
.LBB1_2:                                ; =>This Inner Loop Header: Depth=1
	s_delay_alu instid0(VALU_DEP_1) | instskip(NEXT) | instid1(VALU_DEP_1)
	v_ashrrev_i32_e32 v4, 31, v3
	v_lshlrev_b64 v[4:5], 3, v[3:4]
	v_add_nc_u32_e32 v3, s6, v3
	s_delay_alu instid0(VALU_DEP_2) | instskip(NEXT) | instid1(VALU_DEP_3)
	v_add_co_u32 v4, vcc_lo, s2, v4
	v_add_co_ci_u32_e32 v5, vcc_lo, s3, v5, vcc_lo
	s_delay_alu instid0(VALU_DEP_3) | instskip(SKIP_4) | instid1(VALU_DEP_1)
	v_cmp_le_i32_e32 vcc_lo, s4, v3
	global_load_b64 v[4:5], v[4:5], off
	s_or_b32 s1, vcc_lo, s1
	s_waitcnt vmcnt(0)
	v_add_co_u32 v1, s0, v4, v1
	v_add_co_ci_u32_e64 v2, s0, v5, v2, s0
	s_and_not1_b32 exec_lo, exec_lo, s1
	s_cbranch_execnz .LBB1_2
; %bb.3:
	s_or_b32 exec_lo, exec_lo, s1
.LBB1_4:
	s_delay_alu instid0(SALU_CYCLE_1)
	s_or_b32 exec_lo, exec_lo, s5
	v_lshlrev_b32_e32 v3, 3, v0
	s_mov_b32 s0, exec_lo
	ds_store_b64 v3, v[1:2]
	s_waitcnt lgkmcnt(0)
	s_barrier
	buffer_gl0_inv
	v_cmpx_gt_u32_e32 16, v0
	s_cbranch_execz .LBB1_6
; %bb.5:
	ds_load_2addr_b64 v[4:7], v3 offset1:16
	s_waitcnt lgkmcnt(0)
	v_add_co_u32 v1, vcc_lo, v4, v6
	v_add_co_ci_u32_e32 v2, vcc_lo, v5, v7, vcc_lo
	ds_store_b64 v3, v[1:2]
.LBB1_6:
	s_or_b32 exec_lo, exec_lo, s0
	s_delay_alu instid0(SALU_CYCLE_1)
	s_mov_b32 s0, exec_lo
	s_waitcnt lgkmcnt(0)
	s_barrier
	buffer_gl0_inv
	v_cmpx_gt_u32_e32 8, v0
	s_cbranch_execz .LBB1_8
; %bb.7:
	ds_load_2addr_b64 v[4:7], v3 offset1:8
	s_waitcnt lgkmcnt(0)
	v_add_co_u32 v1, vcc_lo, v4, v6
	v_add_co_ci_u32_e32 v2, vcc_lo, v5, v7, vcc_lo
	ds_store_b64 v3, v[1:2]
.LBB1_8:
	s_or_b32 exec_lo, exec_lo, s0
	s_delay_alu instid0(SALU_CYCLE_1)
	s_mov_b32 s0, exec_lo
	s_waitcnt lgkmcnt(0)
	s_barrier
	buffer_gl0_inv
	v_cmpx_gt_u32_e32 4, v0
	s_cbranch_execz .LBB1_10
; %bb.9:
	ds_load_2addr_b64 v[4:7], v3 offset1:4
	s_waitcnt lgkmcnt(0)
	v_add_co_u32 v1, vcc_lo, v4, v6
	v_add_co_ci_u32_e32 v2, vcc_lo, v5, v7, vcc_lo
	ds_store_b64 v3, v[1:2]
.LBB1_10:
	s_or_b32 exec_lo, exec_lo, s0
	s_delay_alu instid0(SALU_CYCLE_1)
	s_mov_b32 s0, exec_lo
	s_waitcnt lgkmcnt(0)
	s_barrier
	buffer_gl0_inv
	v_cmpx_gt_u32_e32 2, v0
	s_cbranch_execz .LBB1_12
; %bb.11:
	ds_load_2addr_b64 v[4:7], v3 offset1:2
	s_waitcnt lgkmcnt(0)
	v_add_co_u32 v1, vcc_lo, v4, v6
	v_add_co_ci_u32_e32 v2, vcc_lo, v5, v7, vcc_lo
	ds_store_b64 v3, v[1:2]
.LBB1_12:
	s_or_b32 exec_lo, exec_lo, s0
	s_delay_alu instid0(SALU_CYCLE_1)
	s_mov_b32 s0, exec_lo
	s_waitcnt lgkmcnt(0)
	s_barrier
	buffer_gl0_inv
	v_cmpx_eq_u32_e32 0, v0
	s_cbranch_execz .LBB1_14
; %bb.13:
	v_mov_b32_e32 v0, 0
	ds_load_b64 v[0:1], v0 offset:8
	ds_load_b64 v[4:5], v3
	s_waitcnt lgkmcnt(0)
	v_add_co_u32 v0, vcc_lo, v4, v0
	v_add_co_ci_u32_e32 v1, vcc_lo, v5, v1, vcc_lo
	ds_store_b64 v3, v[0:1]
.LBB1_14:
	s_or_b32 exec_lo, exec_lo, s0
	v_mov_b32_e32 v2, 0
	s_waitcnt lgkmcnt(0)
	s_barrier
	buffer_gl0_inv
	ds_load_b64 v[0:1], v2
	s_waitcnt lgkmcnt(0)
	global_store_b64 v2, v[0:1], s[2:3]
	s_nop 0
	s_sendmsg sendmsg(MSG_DEALLOC_VGPRS)
	s_endpgm
	.section	.rodata,"a",@progbits
	.p2align	6, 0x0
	.amdhsa_kernel _Z3sumPli
		.amdhsa_group_segment_fixed_size 256
		.amdhsa_private_segment_fixed_size 0
		.amdhsa_kernarg_size 272
		.amdhsa_user_sgpr_count 15
		.amdhsa_user_sgpr_dispatch_ptr 0
		.amdhsa_user_sgpr_queue_ptr 0
		.amdhsa_user_sgpr_kernarg_segment_ptr 1
		.amdhsa_user_sgpr_dispatch_id 0
		.amdhsa_user_sgpr_private_segment_size 0
		.amdhsa_wavefront_size32 1
		.amdhsa_uses_dynamic_stack 0
		.amdhsa_enable_private_segment 0
		.amdhsa_system_sgpr_workgroup_id_x 1
		.amdhsa_system_sgpr_workgroup_id_y 0
		.amdhsa_system_sgpr_workgroup_id_z 0
		.amdhsa_system_sgpr_workgroup_info 0
		.amdhsa_system_vgpr_workitem_id 0
		.amdhsa_next_free_vgpr 8
		.amdhsa_next_free_sgpr 7
		.amdhsa_reserve_vcc 1
		.amdhsa_float_round_mode_32 0
		.amdhsa_float_round_mode_16_64 0
		.amdhsa_float_denorm_mode_32 3
		.amdhsa_float_denorm_mode_16_64 3
		.amdhsa_dx10_clamp 1
		.amdhsa_ieee_mode 1
		.amdhsa_fp16_overflow 0
		.amdhsa_workgroup_processor_mode 1
		.amdhsa_memory_ordered 1
		.amdhsa_forward_progress 0
		.amdhsa_shared_vgpr_count 0
		.amdhsa_exception_fp_ieee_invalid_op 0
		.amdhsa_exception_fp_denorm_src 0
		.amdhsa_exception_fp_ieee_div_zero 0
		.amdhsa_exception_fp_ieee_overflow 0
		.amdhsa_exception_fp_ieee_underflow 0
		.amdhsa_exception_fp_ieee_inexact 0
		.amdhsa_exception_int_div_zero 0
	.end_amdhsa_kernel
	.text
.Lfunc_end1:
	.size	_Z3sumPli, .Lfunc_end1-_Z3sumPli
                                        ; -- End function
	.section	.AMDGPU.csdata,"",@progbits
; Kernel info:
; codeLenInByte = 592
; NumSgprs: 9
; NumVgprs: 8
; ScratchSize: 0
; MemoryBound: 0
; FloatMode: 240
; IeeeMode: 1
; LDSByteSize: 256 bytes/workgroup (compile time only)
; SGPRBlocks: 1
; VGPRBlocks: 0
; NumSGPRsForWavesPerEU: 9
; NumVGPRsForWavesPerEU: 8
; Occupancy: 16
; WaveLimiterHint : 0
; COMPUTE_PGM_RSRC2:SCRATCH_EN: 0
; COMPUTE_PGM_RSRC2:USER_SGPR: 15
; COMPUTE_PGM_RSRC2:TRAP_HANDLER: 0
; COMPUTE_PGM_RSRC2:TGID_X_EN: 1
; COMPUTE_PGM_RSRC2:TGID_Y_EN: 0
; COMPUTE_PGM_RSRC2:TGID_Z_EN: 0
; COMPUTE_PGM_RSRC2:TIDIG_COMP_CNT: 0
	.text
	.p2alignl 7, 3214868480
	.fill 96, 4, 3214868480
	.type	__hip_cuid_c270eb91d58d299d,@object ; @__hip_cuid_c270eb91d58d299d
	.section	.bss,"aw",@nobits
	.globl	__hip_cuid_c270eb91d58d299d
__hip_cuid_c270eb91d58d299d:
	.byte	0                               ; 0x0
	.size	__hip_cuid_c270eb91d58d299d, 1

	.ident	"AMD clang version 19.0.0git (https://github.com/RadeonOpenCompute/llvm-project roc-6.4.0 25133 c7fe45cf4b819c5991fe208aaa96edf142730f1d)"
	.section	".note.GNU-stack","",@progbits
	.addrsig
	.addrsig_sym __hip_cuid_c270eb91d58d299d
	.amdgpu_metadata
---
amdhsa.kernels:
  - .args:
      - .address_space:  global
        .offset:         0
        .size:           8
        .value_kind:     global_buffer
      - .offset:         8
        .size:           8
        .value_kind:     by_value
    .group_segment_fixed_size: 0
    .kernarg_segment_align: 8
    .kernarg_segment_size: 16
    .language:       OpenCL C
    .language_version:
      - 2
      - 0
    .max_flat_workgroup_size: 1024
    .name:           _Z11clock_blockPll
    .private_segment_fixed_size: 0
    .sgpr_count:     25
    .sgpr_spill_count: 0
    .symbol:         _Z11clock_blockPll.kd
    .uniform_work_group_size: 1
    .uses_dynamic_stack: false
    .vgpr_count:     3
    .vgpr_spill_count: 0
    .wavefront_size: 32
    .workgroup_processor_mode: 1
  - .args:
      - .address_space:  global
        .offset:         0
        .size:           8
        .value_kind:     global_buffer
      - .offset:         8
        .size:           4
        .value_kind:     by_value
      - .offset:         16
        .size:           4
        .value_kind:     hidden_block_count_x
      - .offset:         20
        .size:           4
        .value_kind:     hidden_block_count_y
      - .offset:         24
        .size:           4
        .value_kind:     hidden_block_count_z
      - .offset:         28
        .size:           2
        .value_kind:     hidden_group_size_x
      - .offset:         30
        .size:           2
        .value_kind:     hidden_group_size_y
      - .offset:         32
        .size:           2
        .value_kind:     hidden_group_size_z
      - .offset:         34
        .size:           2
        .value_kind:     hidden_remainder_x
      - .offset:         36
        .size:           2
        .value_kind:     hidden_remainder_y
      - .offset:         38
        .size:           2
        .value_kind:     hidden_remainder_z
      - .offset:         56
        .size:           8
        .value_kind:     hidden_global_offset_x
      - .offset:         64
        .size:           8
        .value_kind:     hidden_global_offset_y
      - .offset:         72
        .size:           8
        .value_kind:     hidden_global_offset_z
      - .offset:         80
        .size:           2
        .value_kind:     hidden_grid_dims
    .group_segment_fixed_size: 256
    .kernarg_segment_align: 8
    .kernarg_segment_size: 272
    .language:       OpenCL C
    .language_version:
      - 2
      - 0
    .max_flat_workgroup_size: 1024
    .name:           _Z3sumPli
    .private_segment_fixed_size: 0
    .sgpr_count:     9
    .sgpr_spill_count: 0
    .symbol:         _Z3sumPli.kd
    .uniform_work_group_size: 1
    .uses_dynamic_stack: false
    .vgpr_count:     8
    .vgpr_spill_count: 0
    .wavefront_size: 32
    .workgroup_processor_mode: 1
amdhsa.target:   amdgcn-amd-amdhsa--gfx1100
amdhsa.version:
  - 1
  - 2
...

	.end_amdgpu_metadata
